;; amdgpu-corpus repo=ROCm/rocFFT kind=compiled arch=gfx1030 opt=O3
	.text
	.amdgcn_target "amdgcn-amd-amdhsa--gfx1030"
	.amdhsa_code_object_version 6
	.protected	fft_rtc_fwd_len17_factors_17_wgs_120_tpt_1_dp_op_CI_CI_sbrc_xy_z_aligned ; -- Begin function fft_rtc_fwd_len17_factors_17_wgs_120_tpt_1_dp_op_CI_CI_sbrc_xy_z_aligned
	.globl	fft_rtc_fwd_len17_factors_17_wgs_120_tpt_1_dp_op_CI_CI_sbrc_xy_z_aligned
	.p2align	8
	.type	fft_rtc_fwd_len17_factors_17_wgs_120_tpt_1_dp_op_CI_CI_sbrc_xy_z_aligned,@function
fft_rtc_fwd_len17_factors_17_wgs_120_tpt_1_dp_op_CI_CI_sbrc_xy_z_aligned: ; @fft_rtc_fwd_len17_factors_17_wgs_120_tpt_1_dp_op_CI_CI_sbrc_xy_z_aligned
; %bb.0:
	s_clause 0x2
	s_load_dwordx4 s[16:19], s[4:5], 0x10
	s_load_dwordx2 s[24:25], s[4:5], 0x20
	s_load_dwordx4 s[8:11], s[4:5], 0x58
	s_waitcnt lgkmcnt(0)
	s_load_dwordx4 s[20:23], s[16:17], 0x8
	s_load_dwordx4 s[12:15], s[18:19], 0x0
	s_waitcnt lgkmcnt(0)
	s_add_i32 s0, s22, -1
	s_load_dwordx2 s[22:23], s[18:19], 0x10
	s_mul_hi_u32 s0, s0, 0x88888889
	s_lshr_b32 s0, s0, 6
	s_add_i32 s0, s0, 1
	s_mul_i32 s26, s0, s20
	v_cvt_f32_u32_e32 v1, s26
	s_sub_i32 s1, 0, s26
	v_rcp_iflag_f32_e32 v1, v1
	v_mul_f32_e32 v1, 0x4f7ffffe, v1
	v_cvt_u32_f32_e32 v1, v1
	v_readfirstlane_b32 s0, v1
	v_cvt_f32_u32_e32 v1, s20
	s_mul_i32 s1, s1, s0
	s_mul_hi_u32 s1, s0, s1
	s_add_i32 s0, s0, s1
	s_mul_hi_u32 s7, s6, s0
	s_mul_i32 s0, s7, s26
	s_waitcnt lgkmcnt(0)
	s_add_i32 s23, s7, 1
	s_sub_i32 s15, s6, s0
	s_clause 0x1
	s_load_dwordx4 s[0:3], s[24:25], 0x0
	s_load_dwordx2 s[16:17], s[24:25], 0x10
	s_sub_i32 s27, s15, s26
	s_cmp_ge_u32 s15, s26
	s_waitcnt lgkmcnt(0)
	s_cselect_b32 s3, s23, s7
	s_cselect_b32 s7, s27, s15
	s_add_i32 s15, s3, 1
	s_cmp_ge_u32 s7, s26
	s_mov_b32 s7, 0
	s_cselect_b32 s3, s15, s3
	s_mov_b32 s29, s7
	s_mul_i32 s15, s3, s26
	s_mov_b64 s[26:27], 0
	s_sub_i32 s28, s6, s15
	v_cmp_lt_u64_e64 s15, s[28:29], s[20:21]
	s_and_b32 vcc_lo, exec_lo, s15
	s_cbranch_vccnz .LBB0_2
; %bb.1:
	v_rcp_iflag_f32_e32 v2, v1
	s_sub_i32 s17, 0, s20
	v_mul_f32_e32 v2, 0x4f7ffffe, v2
	v_cvt_u32_f32_e32 v2, v2
	v_readfirstlane_b32 s15, v2
	s_mul_i32 s17, s17, s15
	s_mul_hi_u32 s17, s15, s17
	s_add_i32 s15, s15, s17
	s_mul_hi_u32 s15, s28, s15
	s_mul_i32 s17, s15, s20
	s_add_i32 s23, s15, 1
	s_sub_i32 s17, s28, s17
	s_sub_i32 s26, s17, s20
	s_cmp_ge_u32 s17, s20
	s_cselect_b32 s15, s23, s15
	s_cselect_b32 s17, s26, s17
	s_add_i32 s23, s15, 1
	s_cmp_ge_u32 s17, s20
	s_cselect_b32 s26, s23, s15
.LBB0_2:
	v_cmp_lt_u64_e64 s7, s[6:7], s[20:21]
	s_and_b32 vcc_lo, exec_lo, s7
	s_cbranch_vccnz .LBB0_4
; %bb.3:
	v_rcp_iflag_f32_e32 v1, v1
	s_sub_i32 s15, 0, s20
	v_mul_f32_e32 v1, 0x4f7ffffe, v1
	v_cvt_u32_f32_e32 v1, v1
	v_readfirstlane_b32 s7, v1
	s_mul_i32 s15, s15, s7
	s_mul_hi_u32 s15, s7, s15
	s_add_i32 s7, s7, s15
	s_mul_hi_u32 s7, s6, s7
	s_mul_i32 s7, s7, s20
	s_sub_i32 s6, s6, s7
	s_sub_i32 s7, s6, s20
	s_cmp_ge_u32 s6, s20
	s_cselect_b32 s6, s7, s6
	s_sub_i32 s7, s6, s20
	s_cmp_ge_u32 s6, s20
	s_cselect_b32 s6, s7, s6
.LBB0_4:
	s_load_dwordx2 s[20:21], s[4:5], 0x8
	s_mul_i32 s4, s26, 0x78
	s_mul_i32 s5, s6, s14
	;; [unrolled: 1-line block ×4, first 2 shown]
	s_mul_hi_u32 s17, s0, s4
	v_mul_u32_u24_e32 v1, 0xf10, v0
	v_add_nc_u32_e32 v3, 0x78, v0
	s_add_i32 s14, s5, s7
	s_add_i32 s5, s17, s15
	v_add_nc_u32_e32 v4, 0xf0, v0
	v_lshrrev_b32_e32 v1, 16, v1
	v_mul_u32_u24_e32 v2, 0xf10, v3
	v_add_nc_u32_e32 v15, 0x168, v0
	v_mov_b32_e32 v37, 0
	v_mul_u32_u24_e32 v5, 0xf10, v4
	v_mul_lo_u16 v6, v1, 17
	v_lshrrev_b32_e32 v7, 16, v2
	v_mul_lo_u32 v36, s22, v1
	v_mul_u32_u24_e32 v9, 0xf10, v15
	s_waitcnt lgkmcnt(0)
	s_lshl_b64 s[26:27], s[20:21], 3
	v_lshrrev_b32_e32 v14, 16, v5
	s_add_u32 s18, s18, s26
	s_addc_u32 s19, s19, s27
	v_sub_nc_u16 v5, v0, v6
	s_load_dwordx2 s[20:21], s[18:19], 0x0
	v_mul_lo_u16 v6, v7, 17
	v_mul_lo_u16 v8, v14, 17
	v_lshlrev_b64 v[1:2], 4, v[36:37]
	v_and_b32_e32 v10, 0xffff, v5
	v_mul_lo_u32 v36, s22, v7
	v_sub_nc_u16 v5, v3, v6
	v_sub_nc_u16 v6, v4, v8
	v_lshrrev_b32_e32 v17, 16, v9
	v_mad_u64_u32 v[3:4], null, s12, v10, 0
	v_and_b32_e32 v12, 0xffff, v5
	v_and_b32_e32 v16, 0xffff, v6
	v_mul_lo_u16 v19, v17, 17
	v_add_nc_u32_e32 v18, 0x1e0, v0
	s_mov_b32 s15, 0
	v_mad_u64_u32 v[5:6], null, s12, v12, 0
	v_mad_u64_u32 v[7:8], null, s12, v16, 0
	s_waitcnt lgkmcnt(0)
	s_mul_i32 s7, s21, s3
	s_mul_hi_u32 s17, s20, s3
	s_mul_i32 s20, s20, s3
	s_add_i32 s21, s17, s7
	s_add_u32 s18, s24, s26
	s_addc_u32 s19, s25, s27
	v_mad_u64_u32 v[9:10], null, s13, v10, v[4:5]
	s_load_dwordx2 s[18:19], s[18:19], 0x0
	v_mov_b32_e32 v4, v6
	v_mov_b32_e32 v6, v8
	s_lshl_b64 s[20:21], s[20:21], 4
	v_lshlrev_b64 v[10:11], 4, v[36:37]
	v_mul_lo_u32 v36, s22, v14
	v_mad_u64_u32 v[12:13], null, s13, v12, v[4:5]
	v_mov_b32_e32 v4, v9
	v_mad_u64_u32 v[8:9], null, s13, v16, v[6:7]
	v_sub_nc_u16 v9, v15, v19
	v_add_nc_u32_e32 v16, 0x258, v0
	v_lshlrev_b64 v[3:4], 4, v[3:4]
	v_mov_b32_e32 v6, v12
	v_mul_u32_u24_e32 v12, 0xf10, v18
	v_and_b32_e32 v14, 0xffff, v9
	v_mul_u32_u24_e32 v19, 0xf10, v16
	v_add_nc_u32_e32 v20, 0x2d0, v0
	v_lshlrev_b64 v[5:6], 4, v[5:6]
	s_waitcnt lgkmcnt(0)
	s_mul_i32 s7, s19, s3
	s_mul_hi_u32 s17, s18, s3
	v_lshrrev_b32_e32 v21, 16, v12
	s_add_i32 s7, s17, s7
	s_add_u32 s17, s8, s20
	s_addc_u32 s19, s9, s21
	s_lshl_b64 s[8:9], s[14:15], 4
	v_mad_u64_u32 v[12:13], null, s12, v14, 0
	s_add_u32 s8, s17, s8
	s_addc_u32 s9, s19, s9
	v_add_co_u32 v3, vcc_lo, s8, v3
	v_add_co_ci_u32_e32 v4, vcc_lo, s9, v4, vcc_lo
	v_add_co_u32 v5, vcc_lo, s8, v5
	v_add_co_ci_u32_e32 v6, vcc_lo, s9, v6, vcc_lo
	v_add_co_u32 v1, vcc_lo, v3, v1
	v_mul_lo_u16 v15, v21, 17
	v_add_co_ci_u32_e32 v2, vcc_lo, v4, v2, vcc_lo
	v_lshlrev_b64 v[3:4], 4, v[7:8]
	v_add_co_u32 v5, vcc_lo, v5, v10
	v_mov_b32_e32 v9, v13
	v_sub_nc_u16 v10, v18, v15
	v_lshrrev_b32_e32 v50, 16, v19
	v_add_co_ci_u32_e32 v6, vcc_lo, v6, v11, vcc_lo
	v_add_co_u32 v11, vcc_lo, s8, v3
	v_lshlrev_b64 v[7:8], 4, v[36:37]
	v_add_co_ci_u32_e32 v13, vcc_lo, s9, v4, vcc_lo
	v_mad_u64_u32 v[3:4], null, s13, v14, v[9:10]
	v_mul_lo_u16 v4, v50, 17
	v_and_b32_e32 v18, 0xffff, v10
	v_add_co_u32 v9, vcc_lo, v11, v7
	v_add_co_ci_u32_e32 v10, vcc_lo, v13, v8, vcc_lo
	v_sub_nc_u16 v11, v16, v4
	v_mov_b32_e32 v13, v3
	v_mul_u32_u24_e32 v19, 0xf10, v20
	v_mad_u64_u32 v[14:15], null, s12, v18, 0
	v_and_b32_e32 v22, 0xffff, v11
	v_mul_lo_u32 v36, s22, v17
	v_lshlrev_b64 v[11:12], 4, v[12:13]
	v_lshrrev_b32_e32 v51, 16, v19
	v_add_nc_u32_e32 v25, 0x438, v0
	v_mad_u64_u32 v[16:17], null, s12, v22, 0
	v_mov_b32_e32 v13, v15
	v_add_co_u32 v15, vcc_lo, s8, v11
	v_mul_lo_u16 v24, v51, 17
	v_add_co_ci_u32_e32 v23, vcc_lo, s9, v12, vcc_lo
	v_lshlrev_b64 v[11:12], 4, v[36:37]
	v_mad_u64_u32 v[18:19], null, s13, v18, v[13:14]
	v_mov_b32_e32 v13, v17
	v_sub_nc_u16 v17, v20, v24
	v_add_nc_u32_e32 v24, 0x348, v0
	v_add_co_u32 v19, vcc_lo, v15, v11
	v_add_co_ci_u32_e32 v20, vcc_lo, v23, v12, vcc_lo
	v_mad_u64_u32 v[11:12], null, s13, v22, v[13:14]
	v_and_b32_e32 v22, 0xffff, v17
	v_mul_u32_u24_e32 v17, 0xf10, v24
	v_add_nc_u32_e32 v23, 0x3c0, v0
	v_mov_b32_e32 v15, v18
	v_mul_lo_u32 v36, s22, v21
	v_mad_u64_u32 v[12:13], null, s12, v22, 0
	v_lshrrev_b32_e32 v52, 16, v17
	v_mul_u32_u24_e32 v18, 0xf10, v23
	v_add_nc_u32_e32 v26, 0x4b0, v0
	v_mov_b32_e32 v17, v11
	v_add_nc_u32_e32 v33, 0x528, v0
	v_mul_lo_u16 v21, v52, 17
	v_lshrrev_b32_e32 v53, 16, v18
	v_mul_u32_u24_e32 v18, 0xf10, v25
	v_mov_b32_e32 v11, v13
	v_mul_u32_u24_e32 v28, 0xf10, v33
	v_sub_nc_u16 v13, v24, v21
	v_mul_lo_u16 v24, v53, 17
	v_lshrrev_b32_e32 v58, 16, v18
	v_mul_u32_u24_e32 v18, 0xf10, v26
	v_mad_u64_u32 v[21:22], null, s13, v22, v[11:12]
	v_and_b32_e32 v13, 0xffff, v13
	v_sub_nc_u16 v11, v23, v24
	v_mul_lo_u16 v24, v58, 17
	v_lshrrev_b32_e32 v59, 16, v18
	v_lshrrev_b32_e32 v60, 16, v28
	v_mad_u64_u32 v[22:23], null, s12, v13, 0
	v_and_b32_e32 v18, 0xffff, v11
	v_sub_nc_u16 v11, v25, v24
	v_mul_lo_u16 v27, v59, 17
	v_add_nc_u32_e32 v42, 0x708, v0
	v_lshlrev_b64 v[16:17], 4, v[16:17]
	v_mad_u64_u32 v[24:25], null, s12, v18, 0
	v_and_b32_e32 v34, 0xffff, v11
	v_sub_nc_u16 v29, v26, v27
	v_mov_b32_e32 v11, v23
	s_clause 0x1
	global_load_dwordx4 v[1:4], v[1:2], off
	global_load_dwordx4 v[5:8], v[5:6], off
	v_add_nc_u32_e32 v70, s4, v0
	v_mad_u64_u32 v[26:27], null, s12, v34, 0
	v_and_b32_e32 v23, 0xffff, v29
	v_mad_u64_u32 v[28:29], null, s13, v13, v[11:12]
	v_mov_b32_e32 v11, v25
	v_mul_lo_u16 v25, v60, 17
	v_mad_u64_u32 v[29:30], null, s12, v23, 0
	v_mov_b32_e32 v13, v27
	v_mad_u64_u32 v[31:32], null, s13, v18, v[11:12]
	v_add_nc_u32_e32 v18, 0x5a0, v0
	v_sub_nc_u16 v25, v33, v25
	v_mad_u64_u32 v[32:33], null, s13, v34, v[13:14]
	v_mov_b32_e32 v11, v30
	v_mul_u32_u24_e32 v13, 0xf10, v18
	v_add_nc_u32_e32 v30, 0x618, v0
	v_and_b32_e32 v40, 0xffff, v25
	v_mov_b32_e32 v25, v31
	v_mad_u64_u32 v[33:34], null, s13, v23, v[11:12]
	v_lshrrev_b32_e32 v61, 16, v13
	v_mul_u32_u24_e32 v11, 0xf10, v30
	v_mov_b32_e32 v13, v21
	v_mad_u64_u32 v[34:35], null, s12, v40, 0
	v_mul_lo_u16 v21, v61, 17
	v_lshrrev_b32_e32 v62, 16, v11
	v_mov_b32_e32 v23, v28
	v_add_nc_u32_e32 v28, 0x690, v0
	v_mov_b32_e32 v27, v32
	v_sub_nc_u16 v18, v18, v21
	v_mul_lo_u16 v21, v62, 17
	v_mov_b32_e32 v11, v35
	v_mul_u32_u24_e32 v31, 0xf10, v28
	v_lshlrev_b64 v[14:15], 4, v[14:15]
	v_and_b32_e32 v35, 0xffff, v18
	v_sub_nc_u16 v18, v30, v21
	v_mul_u32_u24_e32 v21, 0xf10, v42
	v_or_b32_e32 v30, 0x780, v0
	v_lshrrev_b32_e32 v63, 16, v31
	v_mad_u64_u32 v[31:32], null, s12, v35, 0
	v_lshrrev_b32_e32 v64, 16, v21
	v_mul_u32_u24_e32 v21, 0xf10, v30
	v_and_b32_e32 v47, 0xffff, v18
	v_mul_lo_u16 v18, v63, 17
	v_mad_u64_u32 v[40:41], null, s13, v40, v[11:12]
	v_mul_lo_u16 v43, v64, 17
	v_lshrrev_b32_e32 v65, 16, v21
	v_sub_nc_u16 v18, v28, v18
	v_mad_u64_u32 v[38:39], null, s12, v47, 0
	v_sub_nc_u16 v21, v42, v43
	v_mov_b32_e32 v11, v32
	v_mul_lo_u16 v32, v65, 17
	v_and_b32_e32 v28, 0xffff, v18
	v_mul_hi_u32 v71, 0x88888889, v70
	v_and_b32_e32 v21, 0xffff, v21
	v_mov_b32_e32 v18, v39
	v_sub_nc_u16 v30, v30, v32
	v_mad_u64_u32 v[41:42], null, s12, v28, 0
	v_mad_u64_u32 v[43:44], null, s12, v21, 0
	v_and_b32_e32 v56, 0xffff, v30
	v_mad_u64_u32 v[45:46], null, s13, v35, v[11:12]
	v_mad_u64_u32 v[46:47], null, s13, v47, v[18:19]
	v_mov_b32_e32 v11, v42
	v_mad_u64_u32 v[54:55], null, s12, v56, 0
	v_mov_b32_e32 v18, v44
	v_mov_b32_e32 v32, v45
	v_mad_u64_u32 v[47:48], null, s13, v28, v[11:12]
	v_mov_b32_e32 v39, v46
	v_lshlrev_b64 v[45:46], 4, v[36:37]
	v_mul_lo_u32 v36, s22, v50
	v_mad_u64_u32 v[48:49], null, s13, v21, v[18:19]
	v_add_co_u32 v18, vcc_lo, s8, v14
	v_mov_b32_e32 v11, v55
	v_add_co_ci_u32_e32 v15, vcc_lo, s9, v15, vcc_lo
	v_add_co_u32 v21, vcc_lo, v18, v45
	v_mad_u64_u32 v[55:56], null, s13, v56, v[11:12]
	v_lshlrev_b64 v[11:12], 4, v[12:13]
	v_lshlrev_b64 v[13:14], 4, v[22:23]
	v_add_co_ci_u32_e32 v22, vcc_lo, v15, v46, vcc_lo
	v_lshlrev_b64 v[45:46], 4, v[36:37]
	v_mul_lo_u32 v36, s22, v51
	v_mov_b32_e32 v30, v33
	v_mov_b32_e32 v35, v40
	;; [unrolled: 1-line block ×3, first 2 shown]
	v_add_co_u32 v15, vcc_lo, s8, v16
	v_mov_b32_e32 v44, v48
	v_add_co_ci_u32_e32 v16, vcc_lo, s9, v17, vcc_lo
	v_lshlrev_b64 v[23:24], 4, v[24:25]
	v_lshlrev_b64 v[25:26], 4, v[26:27]
	;; [unrolled: 1-line block ×7, first 2 shown]
	v_mul_lo_u32 v36, s22, v52
	v_add_co_u32 v42, vcc_lo, v15, v45
	v_lshlrev_b64 v[56:57], 4, v[43:44]
	v_add_co_ci_u32_e32 v43, vcc_lo, v16, v46, vcc_lo
	v_add_co_u32 v17, vcc_lo, s8, v11
	v_add_co_ci_u32_e32 v18, vcc_lo, s9, v12, vcc_lo
	v_add_co_u32 v13, vcc_lo, s8, v13
	v_lshlrev_b64 v[15:16], 4, v[36:37]
	v_mul_lo_u32 v36, s22, v53
	v_add_co_ci_u32_e32 v14, vcc_lo, s9, v14, vcc_lo
	v_add_co_u32 v35, vcc_lo, s8, v23
	v_add_co_ci_u32_e32 v44, vcc_lo, s9, v24, vcc_lo
	v_add_co_u32 v45, vcc_lo, s8, v25
	;; [unrolled: 2-line block ×3, first 2 shown]
	v_lshlrev_b64 v[11:12], 4, v[36:37]
	v_mul_lo_u32 v36, s22, v58
	v_add_co_ci_u32_e32 v48, vcc_lo, s9, v28, vcc_lo
	v_add_co_u32 v49, vcc_lo, s8, v29
	v_add_co_ci_u32_e32 v51, vcc_lo, s9, v30, vcc_lo
	v_add_co_u32 v25, vcc_lo, v17, v40
	v_add_co_ci_u32_e32 v26, vcc_lo, v18, v41, vcc_lo
	v_lshlrev_b64 v[17:18], 4, v[36:37]
	v_mul_lo_u32 v36, s22, v59
	v_lshlrev_b64 v[31:32], 4, v[31:32]
	v_lshlrev_b64 v[54:55], 4, v[54:55]
	v_lshrrev_b32_e32 v71, 6, v71
	s_mov_b32 s34, 0x5d8e7cdc
	s_mov_b32 s35, 0xbfd71e95
	s_mov_b32 s26, 0x370991
	v_add_co_u32 v40, vcc_lo, s8, v31
	v_lshlrev_b64 v[23:24], 4, v[36:37]
	v_mul_lo_u32 v36, s22, v60
	v_add_co_ci_u32_e32 v41, vcc_lo, s9, v32, vcc_lo
	v_add_co_u32 v52, vcc_lo, s8, v33
	v_add_co_ci_u32_e32 v53, vcc_lo, s9, v34, vcc_lo
	v_add_co_u32 v66, vcc_lo, s8, v38
	v_lshlrev_b64 v[27:28], 4, v[36:37]
	v_mul_lo_u32 v36, s22, v61
	v_add_co_ci_u32_e32 v67, vcc_lo, s9, v39, vcc_lo
	v_add_co_u32 v29, vcc_lo, v13, v15
	v_add_co_ci_u32_e32 v30, vcc_lo, v14, v16, vcc_lo
	v_add_co_u32 v33, vcc_lo, v35, v11
	;; [unrolled: 2-line block ×3, first 2 shown]
	v_lshlrev_b64 v[31:32], 4, v[36:37]
	v_mul_lo_u32 v36, s22, v62
	v_add_co_ci_u32_e32 v45, vcc_lo, v46, v18, vcc_lo
	v_add_co_u32 v46, vcc_lo, v47, v23
	v_add_co_ci_u32_e32 v47, vcc_lo, v48, v24, vcc_lo
	v_add_co_u32 v50, vcc_lo, v49, v27
	v_add_co_ci_u32_e32 v51, vcc_lo, v51, v28, vcc_lo
	v_lshlrev_b64 v[27:28], 4, v[36:37]
	v_mul_lo_u32 v36, s22, v63
	v_add_co_u32 v58, vcc_lo, v40, v31
	v_add_co_ci_u32_e32 v59, vcc_lo, v41, v32, vcc_lo
	v_add_co_u32 v60, vcc_lo, v52, v27
	s_clause 0x3
	global_load_dwordx4 v[9:12], v[9:10], off
	global_load_dwordx4 v[13:16], v[19:20], off
	;; [unrolled: 1-line block ×4, first 2 shown]
	v_add_co_ci_u32_e32 v61, vcc_lo, v53, v28, vcc_lo
	s_clause 0x3
	global_load_dwordx4 v[25:28], v[25:26], off
	global_load_dwordx4 v[29:32], v[29:30], off
	;; [unrolled: 1-line block ×4, first 2 shown]
	v_lshlrev_b64 v[33:34], 4, v[36:37]
	v_mul_lo_u32 v36, s22, v64
	s_clause 0x1
	global_load_dwordx4 v[46:49], v[46:47], off
	global_load_dwordx4 v[50:53], v[50:51], off
	v_mul_lo_u32 v71, 0x78, v71
	s_mov_b32 s40, 0x2a9d6da3
	s_mov_b32 s27, 0x3fedd6d0
	v_add_co_u32 v62, vcc_lo, v66, v33
	v_add_co_ci_u32_e32 v63, vcc_lo, v67, v34, vcc_lo
	v_lshlrev_b64 v[33:34], 4, v[36:37]
	v_mul_lo_u32 v36, s22, v65
	v_add_co_u32 v56, vcc_lo, s8, v56
	v_add_co_ci_u32_e32 v57, vcc_lo, s9, v57, vcc_lo
	v_add_co_u32 v54, vcc_lo, s8, v54
	v_add_co_ci_u32_e32 v55, vcc_lo, s9, v55, vcc_lo
	v_lshlrev_b64 v[35:36], 4, v[36:37]
	v_add_co_u32 v64, vcc_lo, v56, v33
	v_add_co_ci_u32_e32 v65, vcc_lo, v57, v34, vcc_lo
	v_sub_nc_u32_e32 v70, v70, v71
	v_add_co_u32 v66, vcc_lo, v54, v35
	v_add_co_ci_u32_e32 v67, vcc_lo, v55, v36, vcc_lo
	s_clause 0x4
	global_load_dwordx4 v[33:36], v[58:59], off
	global_load_dwordx4 v[54:57], v[60:61], off
	;; [unrolled: 1-line block ×5, first 2 shown]
	v_lshl_add_u32 v71, v0, 4, 0
	v_mad_u32_u24 v114, 0x110, v70, 0
	s_mov_b32 s41, 0xbfe58eea
	s_mov_b32 s12, 0x75d4884
	;; [unrolled: 1-line block ×39, first 2 shown]
	s_mul_i32 s4, s0, s4
	s_mul_i32 s14, s6, s16
	;; [unrolled: 1-line block ×3, first 2 shown]
	s_waitcnt vmcnt(16)
	ds_write_b128 v71, v[1:4]
	s_waitcnt vmcnt(15)
	ds_write_b128 v71, v[5:8] offset:1920
	s_waitcnt vmcnt(14)
	ds_write_b128 v71, v[9:12] offset:3840
	;; [unrolled: 2-line block ×16, first 2 shown]
	s_waitcnt lgkmcnt(0)
	s_barrier
	buffer_gl0_inv
	ds_read_b128 v[1:4], v114
	ds_read_b128 v[13:16], v114 offset:16
	ds_read_b128 v[29:32], v114 offset:32
	ds_read_b128 v[17:20], v114 offset:48
	s_waitcnt lgkmcnt(2)
	v_add_f64 v[5:6], v[1:2], v[13:14]
	v_add_f64 v[7:8], v[3:4], v[15:16]
	s_waitcnt lgkmcnt(1)
	v_add_f64 v[5:6], v[5:6], v[29:30]
	v_add_f64 v[7:8], v[7:8], v[31:32]
	s_waitcnt lgkmcnt(0)
	v_add_f64 v[21:22], v[5:6], v[17:18]
	v_add_f64 v[23:24], v[7:8], v[19:20]
	ds_read_b128 v[5:8], v114 offset:64
	ds_read_b128 v[9:12], v114 offset:80
	s_waitcnt lgkmcnt(1)
	v_add_f64 v[21:22], v[21:22], v[5:6]
	v_add_f64 v[23:24], v[23:24], v[7:8]
	s_waitcnt lgkmcnt(0)
	v_add_f64 v[33:34], v[21:22], v[9:10]
	v_add_f64 v[35:36], v[23:24], v[11:12]
	ds_read_b128 v[21:24], v114 offset:96
	ds_read_b128 v[25:28], v114 offset:112
	s_waitcnt lgkmcnt(1)
	v_add_f64 v[33:34], v[33:34], v[21:22]
	v_add_f64 v[35:36], v[35:36], v[23:24]
	s_waitcnt lgkmcnt(0)
	v_add_f64 v[38:39], v[33:34], v[25:26]
	v_add_f64 v[40:41], v[35:36], v[27:28]
	ds_read_b128 v[33:36], v114 offset:128
	ds_read_b128 v[86:89], v114 offset:256
	;; [unrolled: 1-line block ×6, first 2 shown]
	s_waitcnt lgkmcnt(5)
	v_add_f64 v[38:39], v[38:39], v[33:34]
	v_add_f64 v[40:41], v[40:41], v[35:36]
	s_waitcnt lgkmcnt(4)
	v_add_f64 v[106:107], v[15:16], -v[88:89]
	v_add_f64 v[108:109], v[13:14], -v[86:87]
	v_add_f64 v[110:111], v[13:14], v[86:87]
	s_waitcnt lgkmcnt(1)
	v_add_f64 v[50:51], v[29:30], -v[94:95]
	v_add_f64 v[68:69], v[31:32], -v[96:97]
	v_add_f64 v[112:113], v[15:16], v[88:89]
	v_add_f64 v[56:57], v[17:18], -v[90:91]
	v_add_f64 v[60:61], v[19:20], -v[92:93]
	v_add_f64 v[64:65], v[29:30], v[94:95]
	v_add_f64 v[62:63], v[31:32], v[96:97]
	s_waitcnt lgkmcnt(0)
	v_add_f64 v[29:30], v[27:28], v[48:49]
	v_add_f64 v[31:32], v[25:26], -v[46:47]
	ds_read_b128 v[13:16], v114 offset:176
	ds_read_b128 v[98:101], v114 offset:192
	;; [unrolled: 1-line block ×3, first 2 shown]
	v_add_f64 v[74:75], v[17:18], v[90:91]
	v_add_f64 v[76:77], v[19:20], v[92:93]
	s_waitcnt lgkmcnt(0)
	s_barrier
	buffer_gl0_inv
	v_add_f64 v[52:53], v[38:39], v[42:43]
	v_add_f64 v[54:55], v[40:41], v[44:45]
	v_mul_f64 v[58:59], v[106:107], s[34:35]
	v_mul_f64 v[66:67], v[108:109], s[34:35]
	v_add_f64 v[40:41], v[33:34], v[42:43]
	v_add_f64 v[38:39], v[35:36], v[44:45]
	v_add_f64 v[33:34], v[33:34], -v[42:43]
	v_add_f64 v[42:43], v[35:36], -v[44:45]
	v_add_f64 v[35:36], v[25:26], v[46:47]
	v_mul_f64 v[80:81], v[68:69], s[40:41]
	v_mul_f64 v[84:85], v[50:51], s[40:41]
	v_add_f64 v[44:45], v[27:28], -v[48:49]
	v_add_f64 v[78:79], v[7:8], -v[104:105]
	v_mul_f64 v[17:18], v[60:61], s[48:49]
	v_mul_f64 v[19:20], v[56:57], s[48:49]
	;; [unrolled: 1-line block ×8, first 2 shown]
	v_add_f64 v[70:71], v[52:53], v[46:47]
	v_add_f64 v[72:73], v[54:55], v[48:49]
	v_fma_f64 v[82:83], v[110:111], s[26:27], -v[58:59]
	v_fma_f64 v[25:26], v[110:111], s[26:27], v[58:59]
	v_fma_f64 v[27:28], v[112:113], s[26:27], -v[66:67]
	v_fma_f64 v[115:116], v[112:113], s[26:27], v[66:67]
	v_add_f64 v[48:49], v[21:22], v[13:14]
	v_add_f64 v[46:47], v[23:24], v[15:16]
	v_add_f64 v[52:53], v[21:22], -v[13:14]
	v_add_f64 v[54:55], v[23:24], -v[15:16]
	v_add_f64 v[58:59], v[9:10], v[98:99]
	v_fma_f64 v[21:22], v[64:65], s[12:13], -v[80:81]
	v_fma_f64 v[119:120], v[62:63], s[12:13], -v[84:85]
	v_fma_f64 v[117:118], v[62:63], s[12:13], v[84:85]
	v_add_f64 v[66:67], v[11:12], v[100:101]
	v_add_f64 v[84:85], v[5:6], v[102:103]
	v_mul_f64 v[121:122], v[78:79], s[42:43]
	v_fma_f64 v[125:126], v[74:75], s[8:9], -v[17:18]
	v_fma_f64 v[17:18], v[74:75], s[8:9], v[17:18]
	v_mul_f64 v[139:140], v[44:45], s[44:45]
	v_mul_f64 v[141:142], v[33:34], s[30:31]
	v_add_f64 v[13:14], v[70:71], v[13:14]
	v_add_f64 v[15:16], v[72:73], v[15:16]
	v_add_f64 v[72:73], v[5:6], -v[102:103]
	v_add_f64 v[23:24], v[1:2], v[82:83]
	v_add_f64 v[70:71], v[9:10], -v[98:99]
	v_fma_f64 v[9:10], v[64:65], s[12:13], v[80:81]
	v_add_f64 v[25:26], v[1:2], v[25:26]
	v_add_f64 v[27:28], v[3:4], v[27:28]
	;; [unrolled: 1-line block ×3, first 2 shown]
	v_add_f64 v[80:81], v[11:12], -v[100:101]
	v_add_f64 v[82:83], v[7:8], v[104:105]
	v_mul_f64 v[5:6], v[106:107], s[40:41]
	v_mul_f64 v[135:136], v[54:55], s[36:37]
	v_fma_f64 v[137:138], v[84:85], s[20:21], -v[121:122]
	v_fma_f64 v[121:122], v[84:85], s[20:21], v[121:122]
	v_fma_f64 v[163:164], v[35:36], s[46:47], -v[139:140]
	v_fma_f64 v[139:140], v[35:36], s[46:47], v[139:140]
	v_add_f64 v[7:8], v[13:14], v[98:99]
	v_add_f64 v[11:12], v[15:16], v[100:101]
	v_mul_f64 v[123:124], v[72:73], s[42:43]
	v_add_f64 v[21:22], v[21:22], v[23:24]
	v_fma_f64 v[23:24], v[76:77], s[8:9], v[19:20]
	v_fma_f64 v[19:20], v[76:77], s[8:9], -v[19:20]
	v_add_f64 v[9:10], v[9:10], v[25:26]
	v_add_f64 v[25:26], v[119:120], v[27:28]
	;; [unrolled: 1-line block ×3, first 2 shown]
	v_mul_f64 v[131:132], v[80:81], s[24:25]
	v_mul_f64 v[133:134], v[70:71], s[24:25]
	;; [unrolled: 1-line block ×10, first 2 shown]
	v_add_f64 v[7:8], v[7:8], v[102:103]
	v_add_f64 v[11:12], v[11:12], v[104:105]
	v_mul_f64 v[102:103], v[108:109], s[36:37]
	v_add_f64 v[21:22], v[125:126], v[21:22]
	v_fma_f64 v[125:126], v[82:83], s[20:21], v[123:124]
	v_mul_f64 v[104:105], v[108:109], s[44:45]
	v_add_f64 v[9:10], v[17:18], v[9:10]
	v_fma_f64 v[17:18], v[82:83], s[20:21], -v[123:124]
	v_add_f64 v[19:20], v[19:20], v[25:26]
	v_add_f64 v[23:24], v[23:24], v[115:116]
	v_mul_f64 v[115:116], v[52:53], s[36:37]
	v_mul_f64 v[108:109], v[108:109], s[30:31]
	v_fma_f64 v[149:150], v[110:111], s[8:9], -v[13:14]
	v_fma_f64 v[13:14], v[110:111], s[8:9], v[13:14]
	v_mul_f64 v[25:26], v[31:32], s[44:45]
	v_mul_f64 v[123:124], v[42:43], s[30:31]
	v_fma_f64 v[151:152], v[112:113], s[12:13], v[27:28]
	v_fma_f64 v[27:28], v[112:113], s[12:13], -v[27:28]
	v_add_f64 v[7:8], v[7:8], v[90:91]
	v_add_f64 v[11:12], v[11:12], v[92:93]
	v_fma_f64 v[90:91], v[110:111], s[12:13], -v[5:6]
	v_fma_f64 v[92:93], v[110:111], s[12:13], v[5:6]
	v_fma_f64 v[5:6], v[58:59], s[22:23], -v[131:132]
	v_fma_f64 v[131:132], v[58:59], s[22:23], v[131:132]
	v_add_f64 v[9:10], v[121:122], v[9:10]
	v_fma_f64 v[121:122], v[66:67], s[22:23], -v[133:134]
	v_add_f64 v[17:18], v[17:18], v[19:20]
	v_add_f64 v[21:22], v[137:138], v[21:22]
	v_fma_f64 v[137:138], v[66:67], s[22:23], v[133:134]
	v_add_f64 v[23:24], v[125:126], v[23:24]
	v_fma_f64 v[125:126], v[110:111], s[20:21], -v[15:16]
	v_fma_f64 v[15:16], v[110:111], s[20:21], v[15:16]
	v_fma_f64 v[19:20], v[110:111], s[22:23], -v[98:99]
	v_fma_f64 v[98:99], v[110:111], s[22:23], v[98:99]
	;; [unrolled: 2-line block ×3, first 2 shown]
	v_fma_f64 v[153:154], v[46:47], s[28:29], v[115:116]
	v_fma_f64 v[115:116], v[46:47], s[28:29], -v[115:116]
	v_fma_f64 v[155:156], v[112:113], s[46:47], -v[104:105]
	v_fma_f64 v[157:158], v[112:113], s[38:39], v[108:109]
	v_add_f64 v[7:8], v[7:8], v[94:95]
	v_add_f64 v[11:12], v[11:12], v[96:97]
	v_fma_f64 v[94:95], v[110:111], s[46:47], -v[117:118]
	v_fma_f64 v[96:97], v[110:111], s[46:47], v[117:118]
	v_fma_f64 v[117:118], v[110:111], s[38:39], -v[106:107]
	v_fma_f64 v[110:111], v[110:111], s[38:39], v[106:107]
	;; [unrolled: 2-line block ×3, first 2 shown]
	v_add_f64 v[9:10], v[131:132], v[9:10]
	v_add_f64 v[17:18], v[121:122], v[17:18]
	;; [unrolled: 1-line block ×4, first 2 shown]
	v_fma_f64 v[137:138], v[112:113], s[8:9], v[119:120]
	v_fma_f64 v[119:120], v[112:113], s[8:9], -v[119:120]
	v_fma_f64 v[121:122], v[112:113], s[20:21], v[127:128]
	v_fma_f64 v[127:128], v[112:113], s[20:21], -v[127:128]
	;; [unrolled: 2-line block ×3, first 2 shown]
	v_fma_f64 v[159:160], v[112:113], s[38:39], -v[108:109]
	v_add_f64 v[165:166], v[1:2], v[90:91]
	v_add_f64 v[151:152], v[3:4], v[151:152]
	;; [unrolled: 1-line block ×5, first 2 shown]
	v_fma_f64 v[11:12], v[112:113], s[28:29], v[102:103]
	v_fma_f64 v[86:87], v[112:113], s[28:29], -v[102:103]
	v_fma_f64 v[88:89], v[112:113], s[46:47], v[104:105]
	v_add_f64 v[27:28], v[3:4], v[27:28]
	v_add_f64 v[149:150], v[1:2], v[149:150]
	;; [unrolled: 1-line block ×4, first 2 shown]
	v_fma_f64 v[135:136], v[64:65], s[20:21], -v[143:144]
	v_add_f64 v[17:18], v[115:116], v[17:18]
	v_fma_f64 v[115:116], v[62:63], s[20:21], v[145:146]
	v_add_f64 v[21:22], v[106:107], v[21:22]
	v_add_f64 v[23:24], v[153:154], v[23:24]
	v_fma_f64 v[153:154], v[29:30], s[46:47], v[25:26]
	v_fma_f64 v[25:26], v[29:30], s[46:47], -v[25:26]
	v_add_f64 v[137:138], v[3:4], v[137:138]
	v_add_f64 v[119:120], v[3:4], v[119:120]
	;; [unrolled: 1-line block ×22, first 2 shown]
	v_mul_f64 v[15:16], v[78:79], s[30:31]
	v_fma_f64 v[1:2], v[64:65], s[20:21], v[143:144]
	v_fma_f64 v[3:4], v[74:75], s[28:29], -v[147:148]
	v_add_f64 v[11:12], v[135:136], v[165:166]
	v_mul_f64 v[19:20], v[72:73], s[30:31]
	v_add_f64 v[110:111], v[115:116], v[151:152]
	v_fma_f64 v[117:118], v[62:63], s[20:21], -v[145:146]
	v_fma_f64 v[129:130], v[76:77], s[28:29], v[161:162]
	v_mul_f64 v[115:116], v[68:69], s[36:37]
	v_add_f64 v[21:22], v[163:164], v[21:22]
	v_add_f64 v[23:24], v[153:154], v[23:24]
	v_fma_f64 v[133:134], v[40:41], s[38:39], -v[123:124]
	v_add_f64 v[135:136], v[139:140], v[9:10]
	v_fma_f64 v[139:140], v[38:39], s[38:39], v[141:142]
	v_add_f64 v[17:18], v[25:26], v[17:18]
	v_mul_f64 v[25:26], v[50:51], s[36:37]
	v_fma_f64 v[123:124], v[40:41], s[38:39], v[123:124]
	v_fma_f64 v[141:142], v[38:39], s[38:39], -v[141:142]
	v_mul_f64 v[153:154], v[80:81], s[60:61]
	v_fma_f64 v[147:148], v[74:75], s[28:29], v[147:148]
	v_fma_f64 v[155:156], v[76:77], s[28:29], -v[161:162]
	v_fma_f64 v[145:146], v[84:85], s[38:39], -v[15:16]
	v_add_f64 v[143:144], v[1:2], v[167:168]
	v_fma_f64 v[15:16], v[84:85], s[38:39], v[15:16]
	v_add_f64 v[151:152], v[3:4], v[11:12]
	v_add_f64 v[27:28], v[117:118], v[27:28]
	v_mul_f64 v[117:118], v[70:71], s[60:61]
	v_add_f64 v[110:111], v[129:130], v[110:111]
	v_fma_f64 v[129:130], v[82:83], s[38:39], v[19:20]
	v_fma_f64 v[19:20], v[82:83], s[38:39], -v[19:20]
	v_add_f64 v[9:10], v[133:134], v[21:22]
	v_mul_f64 v[21:22], v[54:55], s[56:57]
	v_add_f64 v[11:12], v[139:140], v[23:24]
	v_fma_f64 v[23:24], v[64:65], s[28:29], -v[115:116]
	v_fma_f64 v[115:116], v[64:65], s[28:29], v[115:116]
	v_add_f64 v[1:2], v[123:124], v[135:136]
	v_add_f64 v[3:4], v[141:142], v[17:18]
	v_mul_f64 v[17:18], v[60:61], s[50:51]
	v_fma_f64 v[123:124], v[62:63], s[28:29], v[25:26]
	v_fma_f64 v[135:136], v[58:59], s[46:47], -v[153:154]
	v_mul_f64 v[141:142], v[56:57], s[50:51]
	s_mov_b32 s51, 0x3feca52d
	v_add_f64 v[139:140], v[147:148], v[143:144]
	s_mov_b32 s50, s48
	v_add_f64 v[133:134], v[145:146], v[151:152]
	v_fma_f64 v[25:26], v[62:63], s[28:29], -v[25:26]
	v_mul_f64 v[145:146], v[44:45], s[50:51]
	v_add_f64 v[27:28], v[155:156], v[27:28]
	v_fma_f64 v[143:144], v[66:67], s[46:47], v[117:118]
	v_fma_f64 v[147:148], v[58:59], s[46:47], v[153:154]
	v_add_f64 v[110:111], v[129:130], v[110:111]
	v_mul_f64 v[129:130], v[52:53], s[56:57]
	v_fma_f64 v[117:118], v[66:67], s[46:47], -v[117:118]
	v_mul_f64 v[153:154], v[54:55], s[44:45]
	v_mul_f64 v[151:152], v[70:71], s[48:49]
	v_add_f64 v[23:24], v[23:24], v[149:150]
	v_add_f64 v[13:14], v[115:116], v[13:14]
	v_mul_f64 v[149:150], v[70:71], s[52:53]
	ds_write_b128 v114, v[5:8]
	ds_write_b128 v114, v[9:12] offset:16
	v_add_f64 v[123:124], v[123:124], v[137:138]
	v_fma_f64 v[137:138], v[74:75], s[38:39], -v[17:18]
	v_fma_f64 v[115:116], v[76:77], s[38:39], v[141:142]
	v_fma_f64 v[17:18], v[74:75], s[38:39], v[17:18]
	v_add_f64 v[15:16], v[15:16], v[139:140]
	v_mul_f64 v[139:140], v[78:79], s[56:57]
	v_add_f64 v[133:134], v[135:136], v[133:134]
	v_fma_f64 v[135:136], v[48:49], s[22:23], -v[21:22]
	v_add_f64 v[25:26], v[25:26], v[119:120]
	v_add_f64 v[19:20], v[19:20], v[27:28]
	v_mul_f64 v[27:28], v[31:32], s[50:51]
	v_mul_f64 v[119:120], v[42:43], s[54:55]
	v_add_f64 v[110:111], v[143:144], v[110:111]
	v_fma_f64 v[143:144], v[46:47], s[22:23], v[129:130]
	v_fma_f64 v[21:22], v[48:49], s[22:23], v[21:22]
	v_fma_f64 v[141:142], v[76:77], s[38:39], -v[141:142]
	v_fma_f64 v[129:130], v[46:47], s[22:23], -v[129:130]
	v_add_f64 v[23:24], v[137:138], v[23:24]
	v_fma_f64 v[137:138], v[35:36], s[8:9], -v[145:146]
	v_add_f64 v[115:116], v[115:116], v[123:124]
	v_add_f64 v[15:16], v[147:148], v[15:16]
	v_fma_f64 v[147:148], v[84:85], s[22:23], -v[139:140]
	v_mul_f64 v[123:124], v[80:81], s[52:53]
	v_add_f64 v[133:134], v[135:136], v[133:134]
	v_mul_f64 v[135:136], v[72:73], s[56:57]
	v_add_f64 v[19:20], v[117:118], v[19:20]
	v_fma_f64 v[117:118], v[29:30], s[8:9], v[27:28]
	v_add_f64 v[17:18], v[17:18], v[13:14]
	v_fma_f64 v[139:140], v[84:85], s[22:23], v[139:140]
	v_add_f64 v[110:111], v[143:144], v[110:111]
	v_mul_f64 v[143:144], v[33:34], s[54:55]
	v_add_f64 v[25:26], v[141:142], v[25:26]
	v_mul_f64 v[141:142], v[54:55], s[34:35]
	v_fma_f64 v[27:28], v[29:30], s[8:9], -v[27:28]
	v_add_f64 v[15:16], v[21:22], v[15:16]
	v_add_f64 v[23:24], v[147:148], v[23:24]
	v_mul_f64 v[147:148], v[44:45], s[42:43]
	v_add_f64 v[13:14], v[137:138], v[133:134]
	v_fma_f64 v[133:134], v[40:41], s[26:27], -v[119:120]
	v_fma_f64 v[137:138], v[35:36], s[8:9], v[145:146]
	v_fma_f64 v[21:22], v[82:83], s[22:23], v[135:136]
	v_fma_f64 v[145:146], v[58:59], s[12:13], -v[123:124]
	v_fma_f64 v[135:136], v[82:83], s[22:23], -v[135:136]
	v_add_f64 v[110:111], v[117:118], v[110:111]
	v_fma_f64 v[117:118], v[38:39], s[26:27], v[143:144]
	v_add_f64 v[19:20], v[129:130], v[19:20]
	v_mul_f64 v[129:130], v[68:69], s[30:31]
	v_fma_f64 v[119:120], v[40:41], s[26:27], v[119:120]
	v_add_f64 v[139:140], v[139:140], v[17:18]
	v_fma_f64 v[123:124], v[58:59], s[12:13], v[123:124]
	v_add_f64 v[13:14], v[133:134], v[13:14]
	v_add_f64 v[133:134], v[137:138], v[15:16]
	;; [unrolled: 1-line block ×4, first 2 shown]
	v_fma_f64 v[115:116], v[66:67], s[12:13], v[149:150]
	v_fma_f64 v[137:138], v[48:49], s[26:27], -v[141:142]
	v_mul_f64 v[145:146], v[52:53], s[34:35]
	v_add_f64 v[25:26], v[135:136], v[25:26]
	v_fma_f64 v[135:136], v[66:67], s[12:13], -v[149:150]
	v_add_f64 v[15:16], v[117:118], v[110:111]
	v_add_f64 v[19:20], v[27:28], v[19:20]
	v_fma_f64 v[27:28], v[38:39], s[26:27], -v[143:144]
	v_fma_f64 v[110:111], v[64:65], s[38:39], -v[129:130]
	v_mul_f64 v[117:118], v[50:51], s[30:31]
	v_mul_f64 v[143:144], v[60:61], s[56:57]
	v_add_f64 v[123:124], v[123:124], v[139:140]
	v_mul_f64 v[139:140], v[56:57], s[56:57]
	v_fma_f64 v[129:130], v[64:65], s[38:39], v[129:130]
	v_add_f64 v[17:18], v[119:120], v[133:134]
	v_fma_f64 v[119:120], v[35:36], s[20:21], -v[147:148]
	v_mul_f64 v[133:134], v[31:32], s[42:43]
	v_add_f64 v[21:22], v[115:116], v[21:22]
	v_add_f64 v[23:24], v[137:138], v[23:24]
	v_fma_f64 v[115:116], v[46:47], s[26:27], v[145:146]
	v_fma_f64 v[137:138], v[46:47], s[26:27], -v[145:146]
	v_add_f64 v[25:26], v[135:136], v[25:26]
	v_fma_f64 v[135:136], v[48:49], s[26:27], v[141:142]
	v_mul_f64 v[141:142], v[78:79], s[54:55]
	v_add_f64 v[19:20], v[27:28], v[19:20]
	v_add_f64 v[27:28], v[110:111], v[125:126]
	v_fma_f64 v[110:111], v[62:63], s[38:39], v[117:118]
	v_fma_f64 v[125:126], v[74:75], s[22:23], -v[143:144]
	v_mul_f64 v[145:146], v[33:34], s[44:45]
	v_fma_f64 v[117:118], v[62:63], s[38:39], -v[117:118]
	v_add_f64 v[129:130], v[129:130], v[169:170]
	v_fma_f64 v[143:144], v[74:75], s[22:23], v[143:144]
	v_add_f64 v[23:24], v[119:120], v[23:24]
	v_add_f64 v[21:22], v[115:116], v[21:22]
	v_fma_f64 v[115:116], v[29:30], s[20:21], v[133:134]
	v_mul_f64 v[119:120], v[42:43], s[44:45]
	v_add_f64 v[123:124], v[135:136], v[123:124]
	v_add_f64 v[25:26], v[137:138], v[25:26]
	v_fma_f64 v[135:136], v[35:36], s[20:21], v[147:148]
	v_mul_f64 v[137:138], v[72:73], s[54:55]
	v_add_f64 v[110:111], v[110:111], v[121:122]
	v_add_f64 v[27:28], v[125:126], v[27:28]
	v_fma_f64 v[121:122], v[76:77], s[22:23], v[139:140]
	v_fma_f64 v[125:126], v[84:85], s[26:27], -v[141:142]
	v_mul_f64 v[147:148], v[80:81], s[48:49]
	v_fma_f64 v[133:134], v[29:30], s[20:21], -v[133:134]
	v_add_f64 v[117:118], v[117:118], v[127:128]
	v_fma_f64 v[127:128], v[76:77], s[22:23], -v[139:140]
	v_mul_f64 v[139:140], v[68:69], s[60:61]
	v_add_f64 v[129:130], v[143:144], v[129:130]
	v_mul_f64 v[143:144], v[56:57], s[52:53]
	v_add_f64 v[21:22], v[115:116], v[21:22]
	v_fma_f64 v[115:116], v[40:41], s[46:47], -v[119:120]
	v_fma_f64 v[119:120], v[40:41], s[46:47], v[119:120]
	v_add_f64 v[123:124], v[135:136], v[123:124]
	v_fma_f64 v[135:136], v[38:39], s[46:47], v[145:146]
	v_fma_f64 v[145:146], v[38:39], s[46:47], -v[145:146]
	v_add_f64 v[110:111], v[121:122], v[110:111]
	v_add_f64 v[121:122], v[125:126], v[27:28]
	v_fma_f64 v[125:126], v[82:83], s[26:27], v[137:138]
	v_fma_f64 v[149:150], v[58:59], s[8:9], -v[147:148]
	v_add_f64 v[133:134], v[133:134], v[25:26]
	v_add_f64 v[117:118], v[127:128], v[117:118]
	v_fma_f64 v[127:128], v[82:83], s[26:27], -v[137:138]
	v_fma_f64 v[137:138], v[64:65], s[46:47], -v[139:140]
	v_fma_f64 v[147:148], v[58:59], s[8:9], v[147:148]
	v_add_f64 v[25:26], v[115:116], v[23:24]
	v_add_f64 v[27:28], v[135:136], v[21:22]
	;; [unrolled: 1-line block ×3, first 2 shown]
	v_fma_f64 v[119:120], v[66:67], s[8:9], v[151:152]
	v_mul_f64 v[123:124], v[52:53], s[44:45]
	v_fma_f64 v[135:136], v[84:85], s[26:27], v[141:142]
	v_add_f64 v[110:111], v[125:126], v[110:111]
	v_add_f64 v[115:116], v[149:150], v[121:122]
	v_fma_f64 v[121:122], v[48:49], s[46:47], -v[153:154]
	v_mul_f64 v[125:126], v[50:51], s[60:61]
	v_add_f64 v[23:24], v[145:146], v[133:134]
	v_mul_f64 v[133:134], v[44:45], s[58:59]
	v_mul_f64 v[141:142], v[60:61], s[52:53]
	v_add_f64 v[117:118], v[127:128], v[117:118]
	v_add_f64 v[127:128], v[137:138], v[171:172]
	v_mul_f64 v[145:146], v[78:79], s[48:49]
	v_fma_f64 v[149:150], v[66:67], s[8:9], -v[151:152]
	v_mul_f64 v[151:152], v[72:73], s[48:49]
	s_mov_b32 s49, 0x3fefdd0d
	s_mov_b32 s48, s42
	ds_write_b128 v114, v[13:16] offset:32
	ds_write_b128 v114, v[25:28] offset:48
	v_add_f64 v[129:130], v[135:136], v[129:130]
	v_add_f64 v[110:111], v[119:120], v[110:111]
	v_fma_f64 v[119:120], v[46:47], s[46:47], v[123:124]
	v_add_f64 v[115:116], v[121:122], v[115:116]
	v_fma_f64 v[121:122], v[62:63], s[46:47], v[125:126]
	v_fma_f64 v[123:124], v[46:47], s[46:47], -v[123:124]
	v_fma_f64 v[135:136], v[35:36], s[28:29], -v[133:134]
	;; [unrolled: 1-line block ×4, first 2 shown]
	v_fma_f64 v[141:142], v[74:75], s[12:13], v[141:142]
	v_fma_f64 v[133:134], v[35:36], s[28:29], v[133:134]
	v_add_f64 v[117:118], v[149:150], v[117:118]
	v_mul_f64 v[149:150], v[70:71], s[30:31]
	v_add_f64 v[129:130], v[147:148], v[129:130]
	v_fma_f64 v[147:148], v[48:49], s[46:47], v[153:154]
	v_add_f64 v[119:120], v[119:120], v[110:111]
	v_mul_f64 v[153:154], v[54:55], s[48:49]
	v_add_f64 v[121:122], v[121:122], v[131:132]
	v_fma_f64 v[131:132], v[76:77], s[12:13], v[143:144]
	v_add_f64 v[110:111], v[135:136], v[115:116]
	v_add_f64 v[115:116], v[137:138], v[127:128]
	v_fma_f64 v[127:128], v[84:85], s[8:9], -v[145:146]
	v_mul_f64 v[135:136], v[80:81], s[30:31]
	v_fma_f64 v[137:138], v[64:65], s[46:47], v[139:140]
	v_mul_f64 v[139:140], v[31:32], s[58:59]
	v_add_f64 v[117:118], v[123:124], v[117:118]
	v_fma_f64 v[123:124], v[66:67], s[38:39], v[149:150]
	v_add_f64 v[112:113], v[125:126], v[112:113]
	v_mul_f64 v[125:126], v[44:45], s[34:35]
	v_fma_f64 v[143:144], v[76:77], s[12:13], -v[143:144]
	v_add_f64 v[129:130], v[147:148], v[129:130]
	v_add_f64 v[121:122], v[131:132], v[121:122]
	v_fma_f64 v[131:132], v[82:83], s[8:9], v[151:152]
	v_add_f64 v[115:116], v[127:128], v[115:116]
	v_fma_f64 v[127:128], v[58:59], s[38:39], -v[135:136]
	v_add_f64 v[137:138], v[137:138], v[173:174]
	v_fma_f64 v[147:148], v[29:30], s[28:29], v[139:140]
	v_fma_f64 v[139:140], v[29:30], s[28:29], -v[139:140]
	v_fma_f64 v[135:136], v[58:59], s[38:39], v[135:136]
	v_add_f64 v[112:113], v[143:144], v[112:113]
	v_add_f64 v[129:130], v[133:134], v[129:130]
	v_mul_f64 v[133:134], v[31:32], s[34:35]
	v_add_f64 v[121:122], v[131:132], v[121:122]
	v_mul_f64 v[131:132], v[52:53], s[48:49]
	v_add_f64 v[115:116], v[127:128], v[115:116]
	v_fma_f64 v[127:128], v[48:49], s[20:21], -v[153:154]
	v_add_f64 v[137:138], v[141:142], v[137:138]
	v_fma_f64 v[141:142], v[84:85], s[8:9], v[145:146]
	v_add_f64 v[119:120], v[147:148], v[119:120]
	v_mul_f64 v[145:146], v[68:69], s[56:57]
	v_mul_f64 v[147:148], v[50:51], s[56:57]
	v_add_f64 v[117:118], v[139:140], v[117:118]
	v_fma_f64 v[139:140], v[82:83], s[8:9], -v[151:152]
	v_mul_f64 v[151:152], v[60:61], s[34:35]
	v_add_f64 v[121:122], v[123:124], v[121:122]
	v_fma_f64 v[123:124], v[46:47], s[20:21], v[131:132]
	v_fma_f64 v[131:132], v[46:47], s[20:21], -v[131:132]
	v_add_f64 v[115:116], v[127:128], v[115:116]
	v_fma_f64 v[127:128], v[35:36], s[26:27], -v[125:126]
	v_add_f64 v[137:138], v[141:142], v[137:138]
	v_fma_f64 v[125:126], v[35:36], s[26:27], v[125:126]
	v_fma_f64 v[141:142], v[64:65], s[22:23], -v[145:146]
	v_fma_f64 v[143:144], v[62:63], s[22:23], v[147:148]
	v_fma_f64 v[145:146], v[64:65], s[22:23], v[145:146]
	v_add_f64 v[112:113], v[139:140], v[112:113]
	v_fma_f64 v[139:140], v[66:67], s[38:39], -v[149:150]
	v_mul_f64 v[149:150], v[72:73], s[44:45]
	v_add_f64 v[121:122], v[123:124], v[121:122]
	v_mul_f64 v[123:124], v[56:57], s[34:35]
	v_add_f64 v[115:116], v[127:128], v[115:116]
	v_fma_f64 v[127:128], v[29:30], s[26:27], v[133:134]
	v_add_f64 v[135:136], v[135:136], v[137:138]
	v_add_f64 v[106:107], v[141:142], v[106:107]
	;; [unrolled: 1-line block ×3, first 2 shown]
	v_fma_f64 v[137:138], v[74:75], s[26:27], -v[151:152]
	v_mul_f64 v[141:142], v[78:79], s[44:45]
	v_add_f64 v[112:113], v[139:140], v[112:113]
	v_fma_f64 v[139:140], v[48:49], s[20:21], v[153:154]
	v_mul_f64 v[153:154], v[70:71], s[48:49]
	v_add_f64 v[104:105], v[145:146], v[104:105]
	v_fma_f64 v[151:152], v[74:75], s[26:27], v[151:152]
	v_mul_f64 v[145:146], v[54:55], s[40:41]
	v_fma_f64 v[143:144], v[76:77], s[26:27], v[123:124]
	v_fma_f64 v[123:124], v[76:77], s[26:27], -v[123:124]
	v_add_f64 v[121:122], v[127:128], v[121:122]
	v_add_f64 v[106:107], v[137:138], v[106:107]
	v_fma_f64 v[127:128], v[84:85], s[46:47], -v[141:142]
	v_fma_f64 v[137:138], v[82:83], s[46:47], v[149:150]
	v_add_f64 v[135:136], v[139:140], v[135:136]
	v_add_f64 v[112:113], v[131:132], v[112:113]
	v_fma_f64 v[131:132], v[29:30], s[26:27], -v[133:134]
	v_mul_f64 v[139:140], v[68:69], s[50:51]
	v_mul_f64 v[68:69], v[68:69], s[54:55]
	v_add_f64 v[104:105], v[151:152], v[104:105]
	v_add_f64 v[108:109], v[143:144], v[108:109]
	v_mul_f64 v[143:144], v[80:81], s[48:49]
	v_add_f64 v[106:107], v[127:128], v[106:107]
	v_fma_f64 v[127:128], v[62:63], s[22:23], -v[147:148]
	v_mul_f64 v[147:148], v[50:51], s[50:51]
	v_mul_f64 v[50:51], v[50:51], s[54:55]
	v_add_f64 v[125:126], v[125:126], v[135:136]
	v_add_f64 v[112:113], v[131:132], v[112:113]
	v_mul_f64 v[135:136], v[56:57], s[42:43]
	v_fma_f64 v[151:152], v[64:65], s[26:27], -v[68:69]
	v_mul_f64 v[56:57], v[56:57], s[44:45]
	v_add_f64 v[108:109], v[137:138], v[108:109]
	v_fma_f64 v[133:134], v[58:59], s[20:21], -v[143:144]
	v_fma_f64 v[137:138], v[66:67], s[20:21], v[153:154]
	v_add_f64 v[102:103], v[127:128], v[102:103]
	v_fma_f64 v[127:128], v[64:65], s[8:9], -v[139:140]
	v_fma_f64 v[131:132], v[62:63], s[8:9], v[147:148]
	v_fma_f64 v[147:148], v[62:63], s[8:9], -v[147:148]
	v_add_f64 v[92:93], v[151:152], v[92:93]
	v_add_f64 v[106:107], v[133:134], v[106:107]
	;; [unrolled: 1-line block ×3, first 2 shown]
	v_mul_f64 v[133:134], v[60:61], s[42:43]
	v_fma_f64 v[137:138], v[64:65], s[8:9], v[139:140]
	v_fma_f64 v[64:65], v[64:65], s[26:27], v[68:69]
	;; [unrolled: 1-line block ×3, first 2 shown]
	v_fma_f64 v[50:51], v[62:63], s[26:27], -v[50:51]
	v_mul_f64 v[60:61], v[60:61], s[44:45]
	v_fma_f64 v[139:140], v[48:49], s[12:13], -v[145:146]
	v_add_f64 v[102:103], v[123:124], v[102:103]
	v_fma_f64 v[123:124], v[84:85], s[46:47], v[141:142]
	v_fma_f64 v[141:142], v[82:83], s[46:47], -v[149:150]
	v_add_f64 v[98:99], v[127:128], v[98:99]
	v_add_f64 v[100:101], v[131:132], v[100:101]
	v_fma_f64 v[131:132], v[76:77], s[20:21], v[135:136]
	v_add_f64 v[94:95], v[147:148], v[94:95]
	v_mul_f64 v[147:148], v[72:73], s[58:59]
	v_fma_f64 v[135:136], v[76:77], s[20:21], -v[135:136]
	v_mul_f64 v[72:73], v[72:73], s[52:53]
	v_mul_f64 v[62:63], v[52:53], s[40:41]
	v_fma_f64 v[127:128], v[74:75], s[20:21], -v[133:134]
	v_add_f64 v[96:97], v[137:138], v[96:97]
	v_fma_f64 v[133:134], v[74:75], s[20:21], v[133:134]
	v_mul_f64 v[137:138], v[78:79], s[58:59]
	v_add_f64 v[68:69], v[68:69], v[88:89]
	v_add_f64 v[50:51], v[50:51], v[86:87]
	v_fma_f64 v[86:87], v[76:77], s[46:47], v[56:57]
	v_fma_f64 v[149:150], v[74:75], s[46:47], -v[60:61]
	v_add_f64 v[64:65], v[64:65], v[90:91]
	v_mul_f64 v[78:79], v[78:79], s[52:53]
	v_fma_f64 v[60:61], v[74:75], s[46:47], v[60:61]
	v_fma_f64 v[56:57], v[76:77], s[46:47], -v[56:57]
	v_add_f64 v[74:75], v[123:124], v[104:105]
	v_add_f64 v[76:77], v[141:142], v[102:103]
	v_fma_f64 v[123:124], v[82:83], s[28:29], v[147:148]
	v_add_f64 v[94:95], v[135:136], v[94:95]
	v_mul_f64 v[135:136], v[70:71], s[34:35]
	v_mul_f64 v[70:71], v[70:71], s[36:37]
	v_fma_f64 v[88:89], v[58:59], s[20:21], v[143:144]
	v_add_f64 v[106:107], v[139:140], v[106:107]
	v_fma_f64 v[139:140], v[46:47], s[12:13], v[62:63]
	v_fma_f64 v[62:63], v[46:47], s[12:13], -v[62:63]
	v_add_f64 v[90:91], v[127:128], v[98:99]
	v_add_f64 v[98:99], v[131:132], v[100:101]
	;; [unrolled: 1-line block ×3, first 2 shown]
	v_fma_f64 v[100:101], v[66:67], s[20:21], -v[153:154]
	v_fma_f64 v[102:103], v[84:85], s[28:29], -v[137:138]
	v_fma_f64 v[127:128], v[84:85], s[28:29], v[137:138]
	v_mul_f64 v[131:132], v[80:81], s[34:35]
	v_fma_f64 v[133:134], v[82:83], s[28:29], -v[147:148]
	v_add_f64 v[68:69], v[86:87], v[68:69]
	v_fma_f64 v[86:87], v[82:83], s[12:13], v[72:73]
	v_add_f64 v[92:93], v[149:150], v[92:93]
	v_fma_f64 v[137:138], v[84:85], s[12:13], -v[78:79]
	v_add_f64 v[60:61], v[60:61], v[64:65]
	v_add_f64 v[50:51], v[56:57], v[50:51]
	v_fma_f64 v[56:57], v[84:85], s[12:13], v[78:79]
	v_mul_f64 v[64:65], v[80:81], s[36:37]
	v_fma_f64 v[72:73], v[82:83], s[12:13], -v[72:73]
	v_mul_f64 v[78:79], v[33:34], s[52:53]
	v_add_f64 v[74:75], v[88:89], v[74:75]
	v_mul_f64 v[104:105], v[42:43], s[52:53]
	v_mul_f64 v[88:89], v[42:43], s[36:37]
	v_add_f64 v[108:109], v[139:140], v[108:109]
	v_add_f64 v[84:85], v[123:124], v[98:99]
	;; [unrolled: 1-line block ×5, first 2 shown]
	v_fma_f64 v[98:99], v[58:59], s[26:27], -v[131:132]
	v_add_f64 v[94:95], v[133:134], v[94:95]
	v_fma_f64 v[100:101], v[66:67], s[26:27], v[135:136]
	v_mul_f64 v[102:103], v[54:55], s[30:31]
	v_fma_f64 v[123:124], v[58:59], s[26:27], v[131:132]
	v_add_f64 v[68:69], v[86:87], v[68:69]
	v_mul_f64 v[86:87], v[52:53], s[30:31]
	v_fma_f64 v[127:128], v[66:67], s[26:27], -v[135:136]
	v_add_f64 v[92:93], v[137:138], v[92:93]
	v_add_f64 v[56:57], v[56:57], v[60:61]
	v_fma_f64 v[60:61], v[58:59], s[28:29], -v[64:65]
	v_add_f64 v[50:51], v[72:73], v[50:51]
	v_fma_f64 v[72:73], v[66:67], s[28:29], v[70:71]
	v_fma_f64 v[58:59], v[58:59], s[28:29], v[64:65]
	v_mul_f64 v[54:55], v[54:55], s[50:51]
	v_fma_f64 v[66:67], v[66:67], s[28:29], -v[70:71]
	v_mul_f64 v[52:53], v[52:53], s[50:51]
	v_fma_f64 v[90:91], v[48:49], s[12:13], v[145:146]
	v_mul_f64 v[70:71], v[33:34], s[36:37]
	v_add_f64 v[62:63], v[62:63], v[76:77]
	v_fma_f64 v[64:65], v[38:39], s[12:13], v[78:79]
	v_fma_f64 v[82:83], v[40:41], s[12:13], -v[104:105]
	v_add_f64 v[80:81], v[98:99], v[80:81]
	v_mul_f64 v[98:99], v[44:45], s[30:31]
	v_add_f64 v[84:85], v[100:101], v[84:85]
	v_mul_f64 v[100:101], v[31:32], s[30:31]
	v_add_f64 v[96:97], v[123:124], v[96:97]
	v_fma_f64 v[123:124], v[48:49], s[38:39], -v[102:103]
	v_fma_f64 v[102:103], v[48:49], s[38:39], v[102:103]
	v_add_f64 v[94:95], v[127:128], v[94:95]
	v_fma_f64 v[127:128], v[46:47], s[38:39], v[86:87]
	v_fma_f64 v[86:87], v[46:47], s[38:39], -v[86:87]
	v_add_f64 v[60:61], v[60:61], v[92:93]
	v_mul_f64 v[92:93], v[44:45], s[52:53]
	v_add_f64 v[68:69], v[72:73], v[68:69]
	v_mul_f64 v[72:73], v[31:32], s[52:53]
	v_add_f64 v[56:57], v[58:59], v[56:57]
	v_fma_f64 v[58:59], v[48:49], s[8:9], -v[54:55]
	v_add_f64 v[50:51], v[66:67], v[50:51]
	v_fma_f64 v[66:67], v[46:47], s[8:9], v[52:53]
	v_fma_f64 v[48:49], v[48:49], s[8:9], v[54:55]
	v_mul_f64 v[44:45], v[44:45], s[24:25]
	v_fma_f64 v[46:47], v[46:47], s[8:9], -v[52:53]
	v_mul_f64 v[31:32], v[31:32], s[24:25]
	v_add_f64 v[74:75], v[90:91], v[74:75]
	v_fma_f64 v[52:53], v[35:36], s[38:39], -v[98:99]
	v_fma_f64 v[98:99], v[35:36], s[38:39], v[98:99]
	v_fma_f64 v[76:77], v[29:30], s[38:39], v[100:101]
	v_fma_f64 v[100:101], v[29:30], s[38:39], -v[100:101]
	v_add_f64 v[80:81], v[123:124], v[80:81]
	v_mul_f64 v[123:124], v[42:43], s[50:51]
	v_add_f64 v[96:97], v[102:103], v[96:97]
	v_add_f64 v[84:85], v[127:128], v[84:85]
	v_mul_f64 v[127:128], v[33:34], s[50:51]
	v_add_f64 v[86:87], v[86:87], v[94:95]
	v_fma_f64 v[102:103], v[35:36], s[12:13], -v[92:93]
	v_fma_f64 v[92:93], v[35:36], s[12:13], v[92:93]
	v_fma_f64 v[94:95], v[29:30], s[12:13], v[72:73]
	v_fma_f64 v[72:73], v[29:30], s[12:13], -v[72:73]
	v_add_f64 v[58:59], v[58:59], v[60:61]
	v_mul_f64 v[60:61], v[42:43], s[24:25]
	v_add_f64 v[66:67], v[66:67], v[68:69]
	v_mul_f64 v[68:69], v[33:34], s[24:25]
	v_add_f64 v[48:49], v[48:49], v[56:57]
	v_fma_f64 v[56:57], v[35:36], s[22:23], -v[44:45]
	v_add_f64 v[46:47], v[46:47], v[50:51]
	v_fma_f64 v[50:51], v[29:30], s[22:23], v[31:32]
	v_mul_f64 v[42:43], v[42:43], s[48:49]
	v_mul_f64 v[33:34], v[33:34], s[48:49]
	v_fma_f64 v[35:36], v[35:36], s[22:23], v[44:45]
	v_fma_f64 v[29:30], v[29:30], s[22:23], -v[31:32]
	v_fma_f64 v[54:55], v[38:39], s[28:29], v[70:71]
	v_fma_f64 v[70:71], v[38:39], s[28:29], -v[70:71]
	v_fma_f64 v[90:91], v[40:41], s[28:29], -v[88:89]
	v_fma_f64 v[88:89], v[40:41], s[28:29], v[88:89]
	v_fma_f64 v[104:105], v[40:41], s[12:13], v[104:105]
	v_fma_f64 v[78:79], v[38:39], s[12:13], -v[78:79]
	v_add_f64 v[52:53], v[52:53], v[106:107]
	v_add_f64 v[76:77], v[76:77], v[108:109]
	v_fma_f64 v[106:107], v[40:41], s[8:9], -v[123:124]
	v_fma_f64 v[108:109], v[38:39], s[8:9], v[127:128]
	v_add_f64 v[80:81], v[102:103], v[80:81]
	v_add_f64 v[84:85], v[94:95], v[84:85]
	v_fma_f64 v[94:95], v[40:41], s[22:23], -v[60:61]
	v_fma_f64 v[102:103], v[38:39], s[22:23], v[68:69]
	v_add_f64 v[74:75], v[98:99], v[74:75]
	v_add_f64 v[62:63], v[100:101], v[62:63]
	v_fma_f64 v[98:99], v[40:41], s[8:9], v[123:124]
	v_fma_f64 v[100:101], v[38:39], s[8:9], -v[127:128]
	v_add_f64 v[92:93], v[92:93], v[96:97]
	v_add_f64 v[72:73], v[72:73], v[86:87]
	v_add_f64 v[86:87], v[56:57], v[58:59]
	v_add_f64 v[66:67], v[50:51], v[66:67]
	v_fma_f64 v[96:97], v[40:41], s[20:21], -v[42:43]
	v_fma_f64 v[123:124], v[38:39], s[20:21], v[33:34]
	v_add_f64 v[31:32], v[64:65], v[119:120]
	v_mul_u32_u24_e32 v64, 0x223, v0
	v_fma_f64 v[60:61], v[40:41], s[22:23], v[60:61]
	v_fma_f64 v[68:69], v[38:39], s[22:23], -v[68:69]
	v_add_f64 v[127:128], v[35:36], v[48:49]
	v_add_f64 v[131:132], v[29:30], v[46:47]
	v_fma_f64 v[133:134], v[40:41], s[20:21], v[42:43]
	v_fma_f64 v[135:136], v[38:39], s[20:21], -v[33:34]
	v_add_f64 v[44:45], v[70:71], v[112:113]
	v_lshrrev_b32_e32 v70, 16, v64
	v_add_f64 v[29:30], v[82:83], v[110:111]
	v_add_f64 v[38:39], v[90:91], v[115:116]
	;; [unrolled: 1-line block ×4, first 2 shown]
	v_mul_lo_u16 v71, 0x78, v70
	v_add_f64 v[33:34], v[104:105], v[129:130]
	v_add_f64 v[35:36], v[78:79], v[117:118]
	;; [unrolled: 1-line block ×4, first 2 shown]
	v_sub_nc_u16 v8, v0, v71
	v_add_f64 v[54:55], v[94:95], v[80:81]
	v_add_f64 v[56:57], v[102:103], v[84:85]
	;; [unrolled: 1-line block ×4, first 2 shown]
	v_and_b32_e32 v7, 0xffff, v8
	v_add_f64 v[64:65], v[123:124], v[66:67]
	v_add_f64 v[58:59], v[60:61], v[92:93]
	v_add_f64 v[60:61], v[68:69], v[72:73]
	v_add_f64 v[66:67], v[133:134], v[127:128]
	v_add_f64 v[68:69], v[135:136], v[131:132]
	v_add_f64 v[50:51], v[98:99], v[74:75]
	v_mad_u64_u32 v[5:6], null, s0, v7, 0
	ds_write_b128 v114, v[29:32] offset:64
	ds_write_b128 v114, v[38:41] offset:80
	;; [unrolled: 1-line block ×8, first 2 shown]
	v_mov_b32_e32 v0, v6
	ds_write_b128 v114, v[42:45] offset:192
	ds_write_b128 v114, v[33:36] offset:208
	;; [unrolled: 1-line block ×5, first 2 shown]
	v_mul_lo_u32 v36, s2, v70
	s_waitcnt lgkmcnt(0)
	v_mad_u64_u32 v[6:7], null, s1, v7, v[0:1]
	v_mul_lo_u16 v0, v8, 17
	v_mov_b32_e32 v1, 4
	s_lshl_b64 s[0:1], s[4:5], 4
	v_lshlrev_b32_e32 v7, 4, v70
	s_add_u32 s3, s10, s0
	s_addc_u32 s4, s11, s1
	s_lshl_b64 s[0:1], s[14:15], 4
	v_lshlrev_b32_sdwa v4, v1, v0 dst_sel:DWORD dst_unused:UNUSED_PAD src0_sel:DWORD src1_sel:WORD_0
	v_lshlrev_b64 v[0:1], 4, v[5:6]
	s_add_u32 s3, s3, s0
	s_addc_u32 s4, s4, s1
	s_lshl_b64 s[0:1], s[6:7], 4
	v_lshlrev_b64 v[2:3], 4, v[36:37]
	s_add_u32 s0, s3, s0
	s_addc_u32 s1, s4, s1
	v_add_co_u32 v30, vcc_lo, s0, v0
	v_add3_u32 v5, 0, v4, v7
	v_add_co_ci_u32_e32 v31, vcc_lo, s1, v1, vcc_lo
	v_add_nc_u32_e32 v36, s2, v36
	v_add3_u32 v26, 0, v7, v4
	v_add_co_u32 v16, vcc_lo, v30, v2
	s_barrier
	buffer_gl0_inv
	v_add_co_ci_u32_e32 v17, vcc_lo, v31, v3, vcc_lo
	v_lshlrev_b64 v[18:19], 4, v[36:37]
	v_add_nc_u32_e32 v36, s2, v36
	ds_read_b128 v[0:3], v5
	ds_read_b128 v[4:7], v26 offset:16
	ds_read_b128 v[8:11], v26 offset:32
	;; [unrolled: 1-line block ×3, first 2 shown]
	v_lshlrev_b64 v[20:21], 4, v[36:37]
	v_add_nc_u32_e32 v36, s2, v36
	v_add_co_u32 v18, vcc_lo, v30, v18
	v_add_co_ci_u32_e32 v19, vcc_lo, v31, v19, vcc_lo
	v_lshlrev_b64 v[22:23], 4, v[36:37]
	v_add_nc_u32_e32 v36, s2, v36
	v_add_co_u32 v20, vcc_lo, v30, v20
	v_add_co_ci_u32_e32 v21, vcc_lo, v31, v21, vcc_lo
	v_add_co_u32 v22, vcc_lo, v30, v22
	v_lshlrev_b64 v[24:25], 4, v[36:37]
	v_add_nc_u32_e32 v36, s2, v36
	v_add_co_ci_u32_e32 v23, vcc_lo, v31, v23, vcc_lo
	s_waitcnt lgkmcnt(3)
	global_store_dwordx4 v[16:17], v[0:3], off
	s_waitcnt lgkmcnt(2)
	global_store_dwordx4 v[18:19], v[4:7], off
	;; [unrolled: 2-line block ×4, first 2 shown]
	ds_read_b128 v[0:3], v26 offset:64
	ds_read_b128 v[4:7], v26 offset:80
	v_lshlrev_b64 v[16:17], 4, v[36:37]
	v_add_nc_u32_e32 v36, s2, v36
	ds_read_b128 v[8:11], v26 offset:96
	ds_read_b128 v[12:15], v26 offset:112
	v_add_co_u32 v18, vcc_lo, v30, v24
	v_add_co_ci_u32_e32 v19, vcc_lo, v31, v25, vcc_lo
	v_lshlrev_b64 v[20:21], 4, v[36:37]
	v_add_nc_u32_e32 v36, s2, v36
	v_add_co_u32 v16, vcc_lo, v30, v16
	v_add_co_ci_u32_e32 v17, vcc_lo, v31, v17, vcc_lo
	v_lshlrev_b64 v[22:23], 4, v[36:37]
	v_add_nc_u32_e32 v36, s2, v36
	v_add_co_u32 v20, vcc_lo, v30, v20
	v_add_co_ci_u32_e32 v21, vcc_lo, v31, v21, vcc_lo
	v_add_co_u32 v22, vcc_lo, v30, v22
	v_lshlrev_b64 v[24:25], 4, v[36:37]
	v_add_nc_u32_e32 v36, s2, v36
	v_add_co_ci_u32_e32 v23, vcc_lo, v31, v23, vcc_lo
	s_waitcnt lgkmcnt(3)
	global_store_dwordx4 v[18:19], v[0:3], off
	s_waitcnt lgkmcnt(2)
	global_store_dwordx4 v[16:17], v[4:7], off
	;; [unrolled: 2-line block ×4, first 2 shown]
	ds_read_b128 v[0:3], v26 offset:128
	ds_read_b128 v[4:7], v26 offset:144
	v_lshlrev_b64 v[16:17], 4, v[36:37]
	v_add_nc_u32_e32 v36, s2, v36
	ds_read_b128 v[8:11], v26 offset:160
	ds_read_b128 v[12:15], v26 offset:176
	v_add_co_u32 v18, vcc_lo, v30, v24
	v_add_co_ci_u32_e32 v19, vcc_lo, v31, v25, vcc_lo
	v_lshlrev_b64 v[20:21], 4, v[36:37]
	v_add_nc_u32_e32 v36, s2, v36
	v_add_co_u32 v16, vcc_lo, v30, v16
	v_add_co_ci_u32_e32 v17, vcc_lo, v31, v17, vcc_lo
	v_lshlrev_b64 v[22:23], 4, v[36:37]
	v_add_nc_u32_e32 v36, s2, v36
	;; [unrolled: 4-line block ×3, first 2 shown]
	v_add_co_u32 v22, vcc_lo, v30, v22
	v_add_co_ci_u32_e32 v23, vcc_lo, v31, v23, vcc_lo
	s_waitcnt lgkmcnt(3)
	global_store_dwordx4 v[18:19], v[0:3], off
	s_waitcnt lgkmcnt(2)
	global_store_dwordx4 v[16:17], v[4:7], off
	;; [unrolled: 2-line block ×4, first 2 shown]
	v_lshlrev_b64 v[8:9], 4, v[36:37]
	v_add_co_u32 v20, vcc_lo, v30, v24
	v_add_nc_u32_e32 v36, s2, v36
	v_add_co_ci_u32_e32 v21, vcc_lo, v31, v25, vcc_lo
	v_add_co_u32 v24, vcc_lo, v30, v8
	ds_read_b128 v[0:3], v26 offset:192
	ds_read_b128 v[4:7], v26 offset:208
	v_add_co_ci_u32_e32 v25, vcc_lo, v31, v9, vcc_lo
	ds_read_b128 v[8:11], v26 offset:224
	ds_read_b128 v[12:15], v26 offset:240
	;; [unrolled: 1-line block ×3, first 2 shown]
	v_lshlrev_b64 v[22:23], 4, v[36:37]
	v_add_nc_u32_e32 v36, s2, v36
	v_lshlrev_b64 v[26:27], 4, v[36:37]
	v_add_nc_u32_e32 v36, s2, v36
	v_add_co_u32 v22, vcc_lo, v30, v22
	v_add_co_ci_u32_e32 v23, vcc_lo, v31, v23, vcc_lo
	v_lshlrev_b64 v[28:29], 4, v[36:37]
	v_add_co_u32 v26, vcc_lo, v30, v26
	v_add_co_ci_u32_e32 v27, vcc_lo, v31, v27, vcc_lo
	v_add_co_u32 v28, vcc_lo, v30, v28
	v_add_co_ci_u32_e32 v29, vcc_lo, v31, v29, vcc_lo
	s_waitcnt lgkmcnt(4)
	global_store_dwordx4 v[20:21], v[0:3], off
	s_waitcnt lgkmcnt(3)
	global_store_dwordx4 v[24:25], v[4:7], off
	;; [unrolled: 2-line block ×5, first 2 shown]
	s_endpgm
	.section	.rodata,"a",@progbits
	.p2align	6, 0x0
	.amdhsa_kernel fft_rtc_fwd_len17_factors_17_wgs_120_tpt_1_dp_op_CI_CI_sbrc_xy_z_aligned
		.amdhsa_group_segment_fixed_size 0
		.amdhsa_private_segment_fixed_size 0
		.amdhsa_kernarg_size 104
		.amdhsa_user_sgpr_count 6
		.amdhsa_user_sgpr_private_segment_buffer 1
		.amdhsa_user_sgpr_dispatch_ptr 0
		.amdhsa_user_sgpr_queue_ptr 0
		.amdhsa_user_sgpr_kernarg_segment_ptr 1
		.amdhsa_user_sgpr_dispatch_id 0
		.amdhsa_user_sgpr_flat_scratch_init 0
		.amdhsa_user_sgpr_private_segment_size 0
		.amdhsa_wavefront_size32 1
		.amdhsa_uses_dynamic_stack 0
		.amdhsa_system_sgpr_private_segment_wavefront_offset 0
		.amdhsa_system_sgpr_workgroup_id_x 1
		.amdhsa_system_sgpr_workgroup_id_y 0
		.amdhsa_system_sgpr_workgroup_id_z 0
		.amdhsa_system_sgpr_workgroup_info 0
		.amdhsa_system_vgpr_workitem_id 0
		.amdhsa_next_free_vgpr 175
		.amdhsa_next_free_sgpr 62
		.amdhsa_reserve_vcc 1
		.amdhsa_reserve_flat_scratch 0
		.amdhsa_float_round_mode_32 0
		.amdhsa_float_round_mode_16_64 0
		.amdhsa_float_denorm_mode_32 3
		.amdhsa_float_denorm_mode_16_64 3
		.amdhsa_dx10_clamp 1
		.amdhsa_ieee_mode 1
		.amdhsa_fp16_overflow 0
		.amdhsa_workgroup_processor_mode 1
		.amdhsa_memory_ordered 1
		.amdhsa_forward_progress 0
		.amdhsa_shared_vgpr_count 0
		.amdhsa_exception_fp_ieee_invalid_op 0
		.amdhsa_exception_fp_denorm_src 0
		.amdhsa_exception_fp_ieee_div_zero 0
		.amdhsa_exception_fp_ieee_overflow 0
		.amdhsa_exception_fp_ieee_underflow 0
		.amdhsa_exception_fp_ieee_inexact 0
		.amdhsa_exception_int_div_zero 0
	.end_amdhsa_kernel
	.text
.Lfunc_end0:
	.size	fft_rtc_fwd_len17_factors_17_wgs_120_tpt_1_dp_op_CI_CI_sbrc_xy_z_aligned, .Lfunc_end0-fft_rtc_fwd_len17_factors_17_wgs_120_tpt_1_dp_op_CI_CI_sbrc_xy_z_aligned
                                        ; -- End function
	.section	.AMDGPU.csdata,"",@progbits
; Kernel info:
; codeLenInByte = 10192
; NumSgprs: 64
; NumVgprs: 175
; ScratchSize: 0
; MemoryBound: 0
; FloatMode: 240
; IeeeMode: 1
; LDSByteSize: 0 bytes/workgroup (compile time only)
; SGPRBlocks: 7
; VGPRBlocks: 21
; NumSGPRsForWavesPerEU: 64
; NumVGPRsForWavesPerEU: 175
; Occupancy: 5
; WaveLimiterHint : 1
; COMPUTE_PGM_RSRC2:SCRATCH_EN: 0
; COMPUTE_PGM_RSRC2:USER_SGPR: 6
; COMPUTE_PGM_RSRC2:TRAP_HANDLER: 0
; COMPUTE_PGM_RSRC2:TGID_X_EN: 1
; COMPUTE_PGM_RSRC2:TGID_Y_EN: 0
; COMPUTE_PGM_RSRC2:TGID_Z_EN: 0
; COMPUTE_PGM_RSRC2:TIDIG_COMP_CNT: 0
	.text
	.p2alignl 6, 3214868480
	.fill 48, 4, 3214868480
	.type	__hip_cuid_533cd29ccb088d2a,@object ; @__hip_cuid_533cd29ccb088d2a
	.section	.bss,"aw",@nobits
	.globl	__hip_cuid_533cd29ccb088d2a
__hip_cuid_533cd29ccb088d2a:
	.byte	0                               ; 0x0
	.size	__hip_cuid_533cd29ccb088d2a, 1

	.ident	"AMD clang version 19.0.0git (https://github.com/RadeonOpenCompute/llvm-project roc-6.4.0 25133 c7fe45cf4b819c5991fe208aaa96edf142730f1d)"
	.section	".note.GNU-stack","",@progbits
	.addrsig
	.addrsig_sym __hip_cuid_533cd29ccb088d2a
	.amdgpu_metadata
---
amdhsa.kernels:
  - .args:
      - .actual_access:  read_only
        .address_space:  global
        .offset:         0
        .size:           8
        .value_kind:     global_buffer
      - .offset:         8
        .size:           8
        .value_kind:     by_value
      - .actual_access:  read_only
        .address_space:  global
        .offset:         16
        .size:           8
        .value_kind:     global_buffer
      - .actual_access:  read_only
        .address_space:  global
        .offset:         24
        .size:           8
        .value_kind:     global_buffer
      - .actual_access:  read_only
        .address_space:  global
        .offset:         32
        .size:           8
        .value_kind:     global_buffer
      - .offset:         40
        .size:           8
        .value_kind:     by_value
      - .actual_access:  read_only
        .address_space:  global
        .offset:         48
        .size:           8
        .value_kind:     global_buffer
      - .actual_access:  read_only
        .address_space:  global
        .offset:         56
        .size:           8
        .value_kind:     global_buffer
      - .offset:         64
        .size:           4
        .value_kind:     by_value
      - .actual_access:  read_only
        .address_space:  global
        .offset:         72
        .size:           8
        .value_kind:     global_buffer
      - .actual_access:  read_only
        .address_space:  global
        .offset:         80
        .size:           8
        .value_kind:     global_buffer
      - .actual_access:  read_only
        .address_space:  global
        .offset:         88
        .size:           8
        .value_kind:     global_buffer
      - .actual_access:  write_only
        .address_space:  global
        .offset:         96
        .size:           8
        .value_kind:     global_buffer
    .group_segment_fixed_size: 0
    .kernarg_segment_align: 8
    .kernarg_segment_size: 104
    .language:       OpenCL C
    .language_version:
      - 2
      - 0
    .max_flat_workgroup_size: 120
    .name:           fft_rtc_fwd_len17_factors_17_wgs_120_tpt_1_dp_op_CI_CI_sbrc_xy_z_aligned
    .private_segment_fixed_size: 0
    .sgpr_count:     64
    .sgpr_spill_count: 0
    .symbol:         fft_rtc_fwd_len17_factors_17_wgs_120_tpt_1_dp_op_CI_CI_sbrc_xy_z_aligned.kd
    .uniform_work_group_size: 1
    .uses_dynamic_stack: false
    .vgpr_count:     175
    .vgpr_spill_count: 0
    .wavefront_size: 32
    .workgroup_processor_mode: 1
amdhsa.target:   amdgcn-amd-amdhsa--gfx1030
amdhsa.version:
  - 1
  - 2
...

	.end_amdgpu_metadata
